;; amdgpu-corpus repo=ROCm/rocFFT kind=compiled arch=gfx950 opt=O3
	.text
	.amdgcn_target "amdgcn-amd-amdhsa--gfx950"
	.amdhsa_code_object_version 6
	.protected	fft_rtc_fwd_len800_factors_16_5_10_wgs_160_tpt_160_halfLds_dp_op_CI_CI_unitstride_sbrr_R2C_dirReg ; -- Begin function fft_rtc_fwd_len800_factors_16_5_10_wgs_160_tpt_160_halfLds_dp_op_CI_CI_unitstride_sbrr_R2C_dirReg
	.globl	fft_rtc_fwd_len800_factors_16_5_10_wgs_160_tpt_160_halfLds_dp_op_CI_CI_unitstride_sbrr_R2C_dirReg
	.p2align	8
	.type	fft_rtc_fwd_len800_factors_16_5_10_wgs_160_tpt_160_halfLds_dp_op_CI_CI_unitstride_sbrr_R2C_dirReg,@function
fft_rtc_fwd_len800_factors_16_5_10_wgs_160_tpt_160_halfLds_dp_op_CI_CI_unitstride_sbrr_R2C_dirReg: ; @fft_rtc_fwd_len800_factors_16_5_10_wgs_160_tpt_160_halfLds_dp_op_CI_CI_unitstride_sbrr_R2C_dirReg
; %bb.0:
	s_load_dwordx4 s[4:7], s[0:1], 0x58
	s_load_dwordx4 s[8:11], s[0:1], 0x0
	;; [unrolled: 1-line block ×3, first 2 shown]
	v_mul_u32_u24_e32 v1, 0x19a, v0
	v_add_u32_sdwa v6, s2, v1 dst_sel:DWORD dst_unused:UNUSED_PAD src0_sel:DWORD src1_sel:WORD_1
	v_mov_b32_e32 v4, 0
	s_waitcnt lgkmcnt(0)
	v_cmp_lt_u64_e64 s[2:3], s[10:11], 2
	v_mov_b32_e32 v7, v4
	s_and_b64 vcc, exec, s[2:3]
	v_mov_b64_e32 v[2:3], 0
	s_cbranch_vccnz .LBB0_8
; %bb.1:
	s_load_dwordx2 s[2:3], s[0:1], 0x10
	s_add_u32 s16, s14, 8
	s_addc_u32 s17, s15, 0
	s_add_u32 s18, s12, 8
	s_addc_u32 s19, s13, 0
	s_waitcnt lgkmcnt(0)
	s_add_u32 s20, s2, 8
	v_mov_b64_e32 v[2:3], 0
	s_addc_u32 s21, s3, 0
	s_mov_b64 s[22:23], 1
	v_mov_b64_e32 v[40:41], v[2:3]
.LBB0_2:                                ; =>This Inner Loop Header: Depth=1
	s_load_dwordx2 s[24:25], s[20:21], 0x0
                                        ; implicit-def: $vgpr42_vgpr43
	s_waitcnt lgkmcnt(0)
	v_or_b32_e32 v5, s25, v7
	v_cmp_ne_u64_e32 vcc, 0, v[4:5]
	s_and_saveexec_b64 s[2:3], vcc
	s_xor_b64 s[26:27], exec, s[2:3]
	s_cbranch_execz .LBB0_4
; %bb.3:                                ;   in Loop: Header=BB0_2 Depth=1
	v_cvt_f32_u32_e32 v1, s24
	v_cvt_f32_u32_e32 v5, s25
	s_sub_u32 s2, 0, s24
	s_subb_u32 s3, 0, s25
	v_fmac_f32_e32 v1, 0x4f800000, v5
	v_rcp_f32_e32 v1, v1
	s_nop 0
	v_mul_f32_e32 v1, 0x5f7ffffc, v1
	v_mul_f32_e32 v5, 0x2f800000, v1
	v_trunc_f32_e32 v5, v5
	v_fmac_f32_e32 v1, 0xcf800000, v5
	v_cvt_u32_f32_e32 v5, v5
	v_cvt_u32_f32_e32 v1, v1
	v_mul_lo_u32 v8, s2, v5
	v_mul_hi_u32 v10, s2, v1
	v_mul_lo_u32 v9, s3, v1
	v_add_u32_e32 v10, v10, v8
	v_mul_lo_u32 v12, s2, v1
	v_add_u32_e32 v13, v10, v9
	v_mul_hi_u32 v8, v1, v12
	v_mul_hi_u32 v11, v1, v13
	v_mul_lo_u32 v10, v1, v13
	v_mov_b32_e32 v9, v4
	v_lshl_add_u64 v[8:9], v[8:9], 0, v[10:11]
	v_mul_hi_u32 v11, v5, v12
	v_mul_lo_u32 v12, v5, v12
	v_add_co_u32_e32 v8, vcc, v8, v12
	v_mul_hi_u32 v10, v5, v13
	s_nop 0
	v_addc_co_u32_e32 v8, vcc, v9, v11, vcc
	v_mov_b32_e32 v9, v4
	s_nop 0
	v_addc_co_u32_e32 v11, vcc, 0, v10, vcc
	v_mul_lo_u32 v10, v5, v13
	v_lshl_add_u64 v[8:9], v[8:9], 0, v[10:11]
	v_add_co_u32_e32 v1, vcc, v1, v8
	v_mul_lo_u32 v10, s2, v1
	s_nop 0
	v_addc_co_u32_e32 v5, vcc, v5, v9, vcc
	v_mul_lo_u32 v8, s2, v5
	v_mul_hi_u32 v9, s2, v1
	v_add_u32_e32 v8, v9, v8
	v_mul_lo_u32 v9, s3, v1
	v_add_u32_e32 v12, v8, v9
	v_mul_hi_u32 v14, v5, v10
	v_mul_lo_u32 v15, v5, v10
	v_mul_hi_u32 v9, v1, v12
	v_mul_lo_u32 v8, v1, v12
	v_mul_hi_u32 v10, v1, v10
	v_mov_b32_e32 v11, v4
	v_lshl_add_u64 v[8:9], v[10:11], 0, v[8:9]
	v_add_co_u32_e32 v8, vcc, v8, v15
	v_mul_hi_u32 v13, v5, v12
	s_nop 0
	v_addc_co_u32_e32 v8, vcc, v9, v14, vcc
	v_mul_lo_u32 v10, v5, v12
	s_nop 0
	v_addc_co_u32_e32 v11, vcc, 0, v13, vcc
	v_mov_b32_e32 v9, v4
	v_lshl_add_u64 v[8:9], v[8:9], 0, v[10:11]
	v_add_co_u32_e32 v1, vcc, v1, v8
	v_mul_hi_u32 v10, v6, v1
	s_nop 0
	v_addc_co_u32_e32 v5, vcc, v5, v9, vcc
	v_mad_u64_u32 v[8:9], s[2:3], v6, v5, 0
	v_mov_b32_e32 v11, v4
	v_lshl_add_u64 v[8:9], v[10:11], 0, v[8:9]
	v_mad_u64_u32 v[12:13], s[2:3], v7, v1, 0
	v_add_co_u32_e32 v1, vcc, v8, v12
	v_mad_u64_u32 v[10:11], s[2:3], v7, v5, 0
	s_nop 0
	v_addc_co_u32_e32 v8, vcc, v9, v13, vcc
	v_mov_b32_e32 v9, v4
	s_nop 0
	v_addc_co_u32_e32 v11, vcc, 0, v11, vcc
	v_lshl_add_u64 v[8:9], v[8:9], 0, v[10:11]
	v_mul_lo_u32 v1, s25, v8
	v_mul_lo_u32 v5, s24, v9
	v_mad_u64_u32 v[10:11], s[2:3], s24, v8, 0
	v_add3_u32 v1, v11, v5, v1
	v_sub_u32_e32 v5, v7, v1
	v_mov_b32_e32 v11, s25
	v_sub_co_u32_e32 v14, vcc, v6, v10
	v_lshl_add_u64 v[12:13], v[8:9], 0, 1
	s_nop 0
	v_subb_co_u32_e64 v5, s[2:3], v5, v11, vcc
	v_subrev_co_u32_e64 v10, s[2:3], s24, v14
	v_subb_co_u32_e32 v1, vcc, v7, v1, vcc
	s_nop 0
	v_subbrev_co_u32_e64 v5, s[2:3], 0, v5, s[2:3]
	v_cmp_le_u32_e64 s[2:3], s25, v5
	v_cmp_le_u32_e32 vcc, s25, v1
	s_nop 0
	v_cndmask_b32_e64 v11, 0, -1, s[2:3]
	v_cmp_le_u32_e64 s[2:3], s24, v10
	s_nop 1
	v_cndmask_b32_e64 v10, 0, -1, s[2:3]
	v_cmp_eq_u32_e64 s[2:3], s25, v5
	s_nop 1
	v_cndmask_b32_e64 v5, v11, v10, s[2:3]
	v_lshl_add_u64 v[10:11], v[8:9], 0, 2
	v_cmp_ne_u32_e64 s[2:3], 0, v5
	s_nop 1
	v_cndmask_b32_e64 v5, v13, v11, s[2:3]
	v_cndmask_b32_e64 v11, 0, -1, vcc
	v_cmp_le_u32_e32 vcc, s24, v14
	s_nop 1
	v_cndmask_b32_e64 v13, 0, -1, vcc
	v_cmp_eq_u32_e32 vcc, s25, v1
	s_nop 1
	v_cndmask_b32_e32 v1, v11, v13, vcc
	v_cmp_ne_u32_e32 vcc, 0, v1
	v_cndmask_b32_e64 v1, v12, v10, s[2:3]
	s_nop 0
	v_cndmask_b32_e32 v43, v9, v5, vcc
	v_cndmask_b32_e32 v42, v8, v1, vcc
.LBB0_4:                                ;   in Loop: Header=BB0_2 Depth=1
	s_andn2_saveexec_b64 s[2:3], s[26:27]
	s_cbranch_execz .LBB0_6
; %bb.5:                                ;   in Loop: Header=BB0_2 Depth=1
	v_cvt_f32_u32_e32 v1, s24
	s_sub_i32 s26, 0, s24
	v_mov_b32_e32 v43, v4
	v_rcp_iflag_f32_e32 v1, v1
	s_nop 0
	v_mul_f32_e32 v1, 0x4f7ffffe, v1
	v_cvt_u32_f32_e32 v1, v1
	v_mul_lo_u32 v5, s26, v1
	v_mul_hi_u32 v5, v1, v5
	v_add_u32_e32 v1, v1, v5
	v_mul_hi_u32 v1, v6, v1
	v_mul_lo_u32 v5, v1, s24
	v_sub_u32_e32 v5, v6, v5
	v_add_u32_e32 v8, 1, v1
	v_subrev_u32_e32 v9, s24, v5
	v_cmp_le_u32_e32 vcc, s24, v5
	s_nop 1
	v_cndmask_b32_e32 v5, v5, v9, vcc
	v_cndmask_b32_e32 v1, v1, v8, vcc
	v_add_u32_e32 v8, 1, v1
	v_cmp_le_u32_e32 vcc, s24, v5
	s_nop 1
	v_cndmask_b32_e32 v42, v1, v8, vcc
.LBB0_6:                                ;   in Loop: Header=BB0_2 Depth=1
	s_or_b64 exec, exec, s[2:3]
	v_mad_u64_u32 v[8:9], s[2:3], v42, s24, 0
	s_load_dwordx2 s[2:3], s[18:19], 0x0
	v_mul_lo_u32 v1, v43, s24
	v_mul_lo_u32 v5, v42, s25
	s_load_dwordx2 s[24:25], s[16:17], 0x0
	s_add_u32 s22, s22, 1
	v_add3_u32 v1, v9, v5, v1
	v_sub_co_u32_e32 v5, vcc, v6, v8
	s_addc_u32 s23, s23, 0
	s_nop 0
	v_subb_co_u32_e32 v1, vcc, v7, v1, vcc
	s_add_u32 s16, s16, 8
	s_waitcnt lgkmcnt(0)
	v_mul_lo_u32 v6, s2, v1
	v_mul_lo_u32 v7, s3, v5
	v_mad_u64_u32 v[2:3], s[2:3], s2, v5, v[2:3]
	s_addc_u32 s17, s17, 0
	v_add3_u32 v3, v7, v3, v6
	v_mul_lo_u32 v1, s24, v1
	v_mul_lo_u32 v6, s25, v5
	v_mad_u64_u32 v[40:41], s[2:3], s24, v5, v[40:41]
	s_add_u32 s18, s18, 8
	v_add3_u32 v41, v6, v41, v1
	s_addc_u32 s19, s19, 0
	v_mov_b64_e32 v[6:7], s[10:11]
	s_add_u32 s20, s20, 8
	v_cmp_ge_u64_e32 vcc, s[22:23], v[6:7]
	s_addc_u32 s21, s21, 0
	s_cbranch_vccnz .LBB0_9
; %bb.7:                                ;   in Loop: Header=BB0_2 Depth=1
	v_mov_b64_e32 v[6:7], v[42:43]
	s_branch .LBB0_2
.LBB0_8:
	v_mov_b64_e32 v[40:41], v[2:3]
	v_mov_b64_e32 v[42:43], v[6:7]
.LBB0_9:
	s_load_dwordx2 s[18:19], s[0:1], 0x28
	s_lshl_b64 s[16:17], s[10:11], 3
	s_add_u32 s2, s14, s16
	s_addc_u32 s3, s15, s17
                                        ; implicit-def: $vgpr44
	s_waitcnt lgkmcnt(0)
	v_cmp_gt_u64_e64 s[0:1], s[18:19], v[42:43]
	v_cmp_le_u64_e32 vcc, s[18:19], v[42:43]
	s_and_saveexec_b64 s[10:11], vcc
	s_xor_b64 s[10:11], exec, s[10:11]
; %bb.10:
	s_mov_b32 s14, 0x199999a
	v_mul_hi_u32 v1, v0, s14
	v_mul_u32_u24_e32 v1, 0xa0, v1
	v_sub_u32_e32 v44, v0, v1
                                        ; implicit-def: $vgpr0
                                        ; implicit-def: $vgpr2_vgpr3
; %bb.11:
	s_andn2_saveexec_b64 s[10:11], s[10:11]
	s_cbranch_execz .LBB0_13
; %bb.12:
	s_add_u32 s12, s12, s16
	s_addc_u32 s13, s13, s17
	s_load_dwordx2 s[12:13], s[12:13], 0x0
	s_mov_b32 s14, 0x199999a
	v_mov_b32_e32 v21, 0
	s_waitcnt lgkmcnt(0)
	v_mul_lo_u32 v1, s13, v42
	v_mul_lo_u32 v6, s12, v43
	v_mad_u64_u32 v[4:5], s[12:13], s12, v42, 0
	v_add3_u32 v5, v5, v6, v1
	v_mul_hi_u32 v1, v0, s14
	v_mul_u32_u24_e32 v1, 0xa0, v1
	v_sub_u32_e32 v44, v0, v1
	v_lshl_add_u64 v[0:1], v[4:5], 4, s[4:5]
	v_lshl_add_u64 v[0:1], v[2:3], 4, v[0:1]
	v_lshlrev_b32_e32 v20, 4, v44
	v_lshl_add_u64 v[16:17], v[0:1], 0, v[20:21]
	v_add_co_u32_e32 v18, vcc, 0x1000, v16
	global_load_dwordx4 v[0:3], v[16:17], off
	global_load_dwordx4 v[4:7], v[16:17], off offset:2560
	v_addc_co_u32_e32 v19, vcc, 0, v17, vcc
	global_load_dwordx4 v[8:11], v[18:19], off offset:1024
	global_load_dwordx4 v[12:15], v[18:19], off offset:3584
	v_add_co_u32_e32 v16, vcc, 0x2000, v16
	v_add_u32_e32 v20, 0, v20
	s_nop 0
	v_addc_co_u32_e32 v17, vcc, 0, v17, vcc
	global_load_dwordx4 v[16:19], v[16:17], off offset:2048
	s_waitcnt vmcnt(4)
	ds_write_b128 v20, v[0:3]
	s_waitcnt vmcnt(3)
	ds_write_b128 v20, v[4:7] offset:2560
	s_waitcnt vmcnt(2)
	ds_write_b128 v20, v[8:11] offset:5120
	;; [unrolled: 2-line block ×4, first 2 shown]
.LBB0_13:
	s_or_b64 exec, exec, s[10:11]
	v_lshl_add_u32 v86, v44, 4, 0
	s_waitcnt lgkmcnt(0)
	s_barrier
	ds_read_b128 v[0:3], v86
	ds_read_b128 v[4:7], v86 offset:800
	ds_read_b128 v[8:11], v86 offset:1600
	;; [unrolled: 1-line block ×12, first 2 shown]
	s_waitcnt lgkmcnt(6)
	v_add_f64 v[24:25], v[0:1], -v[24:25]
	v_add_f64 v[26:27], v[2:3], -v[26:27]
	v_fma_f64 v[58:59], v[0:1], 2.0, -v[24:25]
	v_fma_f64 v[60:61], v[2:3], 2.0, -v[26:27]
	ds_read_b128 v[0:3], v86 offset:4800
	s_waitcnt lgkmcnt(3)
	v_add_f64 v[46:47], v[16:17], -v[46:47]
	v_add_f64 v[48:49], v[18:19], -v[48:49]
	;; [unrolled: 1-line block ×4, first 2 shown]
	v_fma_f64 v[62:63], v[16:17], 2.0, -v[46:47]
	v_fma_f64 v[64:65], v[18:19], 2.0, -v[48:49]
	;; [unrolled: 1-line block ×4, first 2 shown]
	ds_read_b128 v[8:11], v86 offset:5600
	ds_read_b128 v[16:19], v86 offset:12000
	s_waitcnt lgkmcnt(2)
	v_add_f64 v[54:55], v[0:1], -v[54:55]
	v_add_f64 v[56:57], v[2:3], -v[56:57]
	;; [unrolled: 1-line block ×3, first 2 shown]
	v_add_f64 v[34:35], v[26:27], v[46:47]
	v_add_f64 v[48:49], v[68:69], v[54:55]
	s_mov_b32 s4, 0x667f3bcd
	v_fma_f64 v[0:1], v[0:1], 2.0, -v[54:55]
	v_fma_f64 v[26:27], v[26:27], 2.0, -v[34:35]
	v_add_f64 v[46:47], v[66:67], -v[56:57]
	v_fma_f64 v[54:55], v[68:69], 2.0, -v[48:49]
	s_mov_b32 s5, 0xbfe6a09e
	v_add_f64 v[74:75], v[12:13], -v[36:37]
	v_fma_f64 v[24:25], v[24:25], 2.0, -v[32:33]
	v_fma_f64 v[36:37], v[66:67], 2.0, -v[46:47]
	v_fma_f64 v[80:81], s[4:5], v[54:55], v[26:27]
	s_mov_b32 s13, 0x3fe6a09e
	s_mov_b32 s12, s4
	v_add_f64 v[30:31], v[6:7], -v[30:31]
	v_add_f64 v[50:51], v[20:21], -v[50:51]
	;; [unrolled: 1-line block ×3, first 2 shown]
	s_waitcnt lgkmcnt(0)
	v_add_f64 v[16:17], v[8:9], -v[16:17]
	v_fma_f64 v[76:77], s[4:5], v[36:37], v[24:25]
	v_fmac_f64_e32 v[80:81], s[12:13], v[36:37]
	v_fma_f64 v[36:37], s[12:13], v[46:47], v[32:33]
	v_add_f64 v[28:29], v[4:5], -v[28:29]
	v_add_f64 v[52:53], v[22:23], -v[52:53]
	;; [unrolled: 1-line block ×3, first 2 shown]
	v_fma_f64 v[8:9], v[8:9], 2.0, -v[16:17]
	v_fmac_f64_e32 v[76:77], s[4:5], v[54:55]
	v_fmac_f64_e32 v[36:37], s[4:5], v[48:49]
	v_fma_f64 v[48:49], s[12:13], v[48:49], v[34:35]
	v_add_f64 v[54:55], v[30:31], v[50:51]
	v_add_f64 v[16:17], v[38:39], v[16:17]
	v_fma_f64 v[6:7], v[6:7], 2.0, -v[30:31]
	v_fma_f64 v[14:15], v[14:15], 2.0, -v[38:39]
	;; [unrolled: 1-line block ×3, first 2 shown]
	v_fmac_f64_e32 v[48:49], s[12:13], v[46:47]
	v_add_f64 v[46:47], v[28:29], -v[52:53]
	v_fma_f64 v[30:31], v[30:31], 2.0, -v[54:55]
	v_add_f64 v[18:19], v[74:75], -v[18:19]
	v_fma_f64 v[38:39], v[38:39], 2.0, -v[16:17]
	v_fma_f64 v[2:3], v[2:3], 2.0, -v[56:57]
	;; [unrolled: 1-line block ×8, first 2 shown]
	v_fma_f64 v[84:85], s[4:5], v[38:39], v[30:31]
	v_fma_f64 v[68:69], s[12:13], v[16:17], v[54:55]
	v_add_f64 v[56:57], v[60:61], -v[64:65]
	v_fma_f64 v[82:83], s[4:5], v[50:51], v[28:29]
	v_fmac_f64_e32 v[84:85], s[12:13], v[50:51]
	v_fma_f64 v[66:67], s[12:13], v[18:19], v[46:47]
	v_fmac_f64_e32 v[68:69], s[12:13], v[18:19]
	v_add_f64 v[50:51], v[58:59], -v[62:63]
	v_fma_f64 v[18:19], v[60:61], 2.0, -v[56:57]
	v_add_f64 v[88:89], v[70:71], -v[0:1]
	v_add_f64 v[90:91], v[72:73], -v[2:3]
	;; [unrolled: 1-line block ×6, first 2 shown]
	v_fmac_f64_e32 v[66:67], s[4:5], v[16:17]
	v_fma_f64 v[16:17], v[58:59], 2.0, -v[50:51]
	v_fma_f64 v[0:1], v[70:71], 2.0, -v[88:89]
	;; [unrolled: 1-line block ×7, first 2 shown]
	v_add_f64 v[70:71], v[16:17], -v[0:1]
	v_add_f64 v[72:73], v[18:19], -v[2:3]
	;; [unrolled: 1-line block ×4, first 2 shown]
	s_mov_b32 s16, 0xa6aea964
	v_fmac_f64_e32 v[82:83], s[4:5], v[38:39]
	v_fma_f64 v[38:39], v[16:17], 2.0, -v[70:71]
	v_fma_f64 v[52:53], v[18:19], 2.0, -v[72:73]
	v_fma_f64 v[0:1], v[4:5], 2.0, -v[78:79]
	v_fma_f64 v[2:3], v[6:7], 2.0, -v[74:75]
	s_mov_b32 s14, 0xcf328d46
	s_mov_b32 s17, 0xbfd87de2
	;; [unrolled: 1-line block ×4, first 2 shown]
	v_add_f64 v[4:5], v[38:39], -v[0:1]
	v_add_f64 v[6:7], v[52:53], -v[2:3]
	v_fma_f64 v[58:59], v[24:25], 2.0, -v[76:77]
	v_fma_f64 v[62:63], v[26:27], 2.0, -v[80:81]
	;; [unrolled: 1-line block ×4, first 2 shown]
	s_mov_b32 s15, 0xbfed906b
	v_fma_f64 v[20:21], s[10:11], v[82:83], v[76:77]
	v_fma_f64 v[22:23], s[10:11], v[84:85], v[80:81]
	s_mov_b32 s19, 0x3fed906b
	s_mov_b32 s18, s14
	v_fma_f64 v[8:9], s[14:15], v[0:1], v[58:59]
	v_fma_f64 v[10:11], s[14:15], v[2:3], v[62:63]
	v_fmac_f64_e32 v[20:21], s[14:15], v[84:85]
	v_fmac_f64_e32 v[22:23], s[18:19], v[82:83]
	;; [unrolled: 1-line block ×4, first 2 shown]
	v_fma_f64 v[0:1], v[76:77], 2.0, -v[20:21]
	v_fma_f64 v[2:3], v[80:81], 2.0, -v[22:23]
	v_add_f64 v[76:77], v[50:51], -v[90:91]
	v_add_f64 v[82:83], v[56:57], v[88:89]
	v_add_f64 v[80:81], v[60:61], -v[94:95]
	v_add_f64 v[84:85], v[64:65], v[92:93]
	v_fma_f64 v[28:29], s[12:13], v[80:81], v[76:77]
	v_fma_f64 v[30:31], s[12:13], v[84:85], v[82:83]
	;; [unrolled: 1-line block ×4, first 2 shown]
	v_fmac_f64_e32 v[28:29], s[4:5], v[84:85]
	v_fmac_f64_e32 v[30:31], s[12:13], v[80:81]
	;; [unrolled: 1-line block ×4, first 2 shown]
	v_fma_f64 v[16:17], v[76:77], 2.0, -v[28:29]
	v_fma_f64 v[18:19], v[82:83], 2.0, -v[30:31]
	;; [unrolled: 1-line block ×4, first 2 shown]
	v_cmp_gt_u32_e32 vcc, 50, v44
	s_barrier
	s_and_saveexec_b64 s[10:11], vcc
	s_cbranch_execz .LBB0_15
; %bb.14:
	v_fma_f64 v[46:47], v[46:47], 2.0, -v[66:67]
	v_fma_f64 v[36:37], v[32:33], 2.0, -v[36:37]
	;; [unrolled: 1-line block ×4, first 2 shown]
	v_fma_f64 v[32:33], s[16:17], v[46:47], v[36:37]
	v_fma_f64 v[34:35], s[16:17], v[54:55], v[48:49]
	v_fmac_f64_e32 v[32:33], s[14:15], v[54:55]
	v_fmac_f64_e32 v[34:35], s[18:19], v[46:47]
	v_fma_f64 v[46:47], v[36:37], 2.0, -v[32:33]
	v_fma_f64 v[36:37], v[56:57], 2.0, -v[82:83]
	;; [unrolled: 1-line block ×3, first 2 shown]
	v_fma_f64 v[56:57], s[4:5], v[64:65], v[36:37]
	v_fma_f64 v[54:55], v[60:61], 2.0, -v[80:81]
	v_fmac_f64_e32 v[56:57], s[12:13], v[54:55]
	v_fma_f64 v[66:67], v[36:37], 2.0, -v[56:57]
	v_fma_f64 v[36:37], v[50:51], 2.0, -v[76:77]
	v_fma_f64 v[54:55], s[4:5], v[54:55], v[36:37]
	v_fmac_f64_e32 v[54:55], s[4:5], v[64:65]
	s_movk_i32 s4, 0xf0
	v_add_f64 v[90:91], v[72:73], v[78:79]
	v_add_f64 v[88:89], v[70:71], -v[74:75]
	v_fma_f64 v[64:65], v[36:37], 2.0, -v[54:55]
	v_fma_f64 v[52:53], v[52:53], 2.0, -v[6:7]
	;; [unrolled: 1-line block ×3, first 2 shown]
	v_mad_u32_u24 v36, v44, s4, v86
	v_fma_f64 v[72:73], v[72:73], 2.0, -v[90:91]
	v_fma_f64 v[70:71], v[70:71], 2.0, -v[88:89]
	;; [unrolled: 1-line block ×5, first 2 shown]
	ds_write_b128 v36, v[50:53]
	ds_write_b128 v36, v[58:61] offset:16
	ds_write_b128 v36, v[64:67] offset:32
	;; [unrolled: 1-line block ×15, first 2 shown]
.LBB0_15:
	s_or_b64 exec, exec, s[10:11]
	v_and_b32_e32 v45, 15, v44
	v_lshlrev_b32_e32 v24, 6, v45
	s_load_dwordx2 s[4:5], s[2:3], 0x0
	s_waitcnt lgkmcnt(0)
	s_barrier
	global_load_dwordx4 v[20:23], v24, s[8:9]
	global_load_dwordx4 v[28:31], v24, s[8:9] offset:16
	global_load_dwordx4 v[32:35], v24, s[8:9] offset:32
	;; [unrolled: 1-line block ×3, first 2 shown]
	ds_read_b128 v[24:27], v86
	ds_read_b128 v[46:49], v86 offset:2560
	ds_read_b128 v[50:53], v86 offset:5120
	;; [unrolled: 1-line block ×4, first 2 shown]
	s_mov_b32 s12, 0x134454ff
	s_mov_b32 s13, 0x3fee6f0e
	;; [unrolled: 1-line block ×10, first 2 shown]
	s_waitcnt lgkmcnt(0)
	s_barrier
	s_waitcnt vmcnt(3)
	v_mul_f64 v[62:63], v[48:49], v[22:23]
	v_mul_f64 v[64:65], v[46:47], v[22:23]
	s_waitcnt vmcnt(2)
	v_mul_f64 v[22:23], v[52:53], v[30:31]
	v_mul_f64 v[66:67], v[50:51], v[30:31]
	;; [unrolled: 3-line block ×4, first 2 shown]
	v_fma_f64 v[38:39], v[46:47], v[20:21], -v[62:63]
	v_fmac_f64_e32 v[64:65], v[48:49], v[20:21]
	v_fma_f64 v[20:21], v[50:51], v[28:29], -v[22:23]
	v_fma_f64 v[22:23], v[54:55], v[32:33], -v[30:31]
	;; [unrolled: 1-line block ×3, first 2 shown]
	v_fmac_f64_e32 v[66:67], v[52:53], v[28:29]
	v_fmac_f64_e32 v[68:69], v[56:57], v[32:33]
	v_fmac_f64_e32 v[70:71], v[60:61], v[36:37]
	v_add_f64 v[28:29], v[24:25], v[38:39]
	v_add_f64 v[30:31], v[20:21], v[22:23]
	;; [unrolled: 1-line block ×3, first 2 shown]
	v_add_f64 v[50:51], v[66:67], -v[68:69]
	v_add_f64 v[32:33], v[38:39], -v[20:21]
	;; [unrolled: 1-line block ×4, first 2 shown]
	v_add_f64 v[60:61], v[66:67], v[68:69]
	v_add_f64 v[72:73], v[20:21], -v[22:23]
	v_add_f64 v[78:79], v[64:65], v[70:71]
	v_add_f64 v[20:21], v[28:29], v[20:21]
	v_fma_f64 v[36:37], -0.5, v[30:31], v[24:25]
	v_fmac_f64_e32 v[24:25], -0.5, v[52:53]
	v_add_f64 v[48:49], v[64:65], -v[70:71]
	v_add_f64 v[58:59], v[26:27], v[64:65]
	v_add_f64 v[62:63], v[38:39], -v[46:47]
	v_add_f64 v[80:81], v[32:33], v[34:35]
	v_fma_f64 v[38:39], -0.5, v[60:61], v[26:27]
	v_fmac_f64_e32 v[26:27], -0.5, v[78:79]
	v_add_f64 v[20:21], v[20:21], v[22:23]
	v_fma_f64 v[32:33], s[14:15], v[50:51], v[24:25]
	v_fmac_f64_e32 v[24:25], s[12:13], v[50:51]
	v_add_f64 v[56:57], v[22:23], -v[46:47]
	v_fma_f64 v[28:29], s[12:13], v[48:49], v[36:37]
	v_fmac_f64_e32 v[36:37], s[14:15], v[48:49]
	v_fma_f64 v[34:35], s[12:13], v[72:73], v[26:27]
	v_add_f64 v[20:21], v[20:21], v[46:47]
	v_fmac_f64_e32 v[32:33], s[2:3], v[48:49]
	v_fmac_f64_e32 v[24:25], s[16:17], v[48:49]
	v_add_f64 v[46:47], v[66:67], -v[64:65]
	v_add_f64 v[48:49], v[68:69], -v[70:71]
	v_fmac_f64_e32 v[26:27], s[14:15], v[72:73]
	v_fmac_f64_e32 v[34:35], s[16:17], v[62:63]
	v_add_f64 v[46:47], v[46:47], v[48:49]
	v_fmac_f64_e32 v[26:27], s[2:3], v[62:63]
	v_add_f64 v[30:31], v[58:59], v[66:67]
	v_fmac_f64_e32 v[34:35], s[10:11], v[46:47]
	v_fmac_f64_e32 v[26:27], s[10:11], v[46:47]
	v_lshrrev_b32_e32 v46, 4, v44
	v_add_f64 v[74:75], v[64:65], -v[66:67]
	v_add_f64 v[76:77], v[70:71], -v[68:69]
	v_add_f64 v[22:23], v[30:31], v[68:69]
	v_fma_f64 v[30:31], s[14:15], v[62:63], v[38:39]
	v_fmac_f64_e32 v[38:39], s[12:13], v[62:63]
	v_mul_u32_u24_e32 v46, 0x50, v46
	v_add_f64 v[52:53], v[54:55], v[56:57]
	v_add_f64 v[54:55], v[74:75], v[76:77]
	v_fmac_f64_e32 v[28:29], s[2:3], v[50:51]
	v_fmac_f64_e32 v[36:37], s[16:17], v[50:51]
	;; [unrolled: 1-line block ×4, first 2 shown]
	s_movk_i32 s2, 0x50
	v_or_b32_e32 v45, v46, v45
	v_add_f64 v[22:23], v[22:23], v[70:71]
	v_fmac_f64_e32 v[28:29], s[10:11], v[80:81]
	v_fmac_f64_e32 v[36:37], s[10:11], v[80:81]
	;; [unrolled: 1-line block ×6, first 2 shown]
	v_lshl_add_u32 v45, v45, 4, 0
	v_cmp_gt_u32_e32 vcc, s2, v44
	ds_write_b128 v45, v[20:23]
	ds_write_b128 v45, v[28:31] offset:256
	ds_write_b128 v45, v[32:35] offset:512
	;; [unrolled: 1-line block ×4, first 2 shown]
	s_waitcnt lgkmcnt(0)
	s_barrier
	s_and_saveexec_b64 s[2:3], vcc
	s_cbranch_execz .LBB0_17
; %bb.16:
	ds_read_b128 v[20:23], v86
	ds_read_b128 v[28:31], v86 offset:1280
	ds_read_b128 v[32:35], v86 offset:2560
	;; [unrolled: 1-line block ×9, first 2 shown]
.LBB0_17:
	s_or_b64 exec, exec, s[2:3]
	s_waitcnt lgkmcnt(0)
	s_barrier
	s_and_saveexec_b64 s[2:3], vcc
	s_cbranch_execz .LBB0_19
; %bb.18:
	v_add_u32_e32 v45, 0xffffffb0, v44
	v_cndmask_b32_e32 v45, v45, v44, vcc
	v_mul_i32_i24_e32 v46, 9, v45
	v_mov_b32_e32 v47, 0
	v_lshl_add_u64 v[82:83], v[46:47], 4, s[8:9]
	global_load_dwordx4 v[46:49], v[82:83], off offset:1040
	global_load_dwordx4 v[50:53], v[82:83], off offset:1072
	global_load_dwordx4 v[54:57], v[82:83], off offset:1136
	global_load_dwordx4 v[58:61], v[82:83], off offset:1104
	global_load_dwordx4 v[62:65], v[82:83], off offset:1056
	global_load_dwordx4 v[66:69], v[82:83], off offset:1088
	global_load_dwordx4 v[70:73], v[82:83], off offset:1152
	global_load_dwordx4 v[74:77], v[82:83], off offset:1120
	global_load_dwordx4 v[78:81], v[82:83], off offset:1024
	s_mov_b32 s10, 0x134454ff
	s_mov_b32 s11, 0x3fee6f0e
	;; [unrolled: 1-line block ×12, first 2 shown]
	s_waitcnt vmcnt(8)
	v_mul_f64 v[82:83], v[32:33], v[48:49]
	s_waitcnt vmcnt(7)
	v_mul_f64 v[84:85], v[36:37], v[52:53]
	v_mul_f64 v[52:53], v[38:39], v[52:53]
	s_waitcnt vmcnt(5)
	v_mul_f64 v[90:91], v[16:17], v[60:61]
	v_mul_f64 v[60:61], v[18:19], v[60:61]
	v_fmac_f64_e32 v[84:85], v[38:39], v[50:51]
	v_mul_f64 v[38:39], v[34:35], v[48:49]
	v_mul_f64 v[88:89], v[4:5], v[56:57]
	v_fma_f64 v[36:37], v[36:37], v[50:51], -v[52:53]
	v_mul_f64 v[48:49], v[6:7], v[56:57]
	s_waitcnt vmcnt(4)
	v_mul_f64 v[50:51], v[26:27], v[64:65]
	s_waitcnt vmcnt(3)
	v_mul_f64 v[52:53], v[2:3], v[68:69]
	v_fmac_f64_e32 v[90:91], v[18:19], v[58:59]
	v_fma_f64 v[16:17], v[16:17], v[58:59], -v[60:61]
	s_waitcnt vmcnt(2)
	v_mul_f64 v[18:19], v[10:11], v[72:73]
	s_waitcnt vmcnt(1)
	v_mul_f64 v[56:57], v[14:15], v[76:77]
	v_mul_f64 v[60:61], v[24:25], v[64:65]
	v_fmac_f64_e32 v[82:83], v[34:35], v[46:47]
	v_fma_f64 v[32:33], v[32:33], v[46:47], -v[38:39]
	v_mul_f64 v[34:35], v[8:9], v[72:73]
	v_mul_f64 v[38:39], v[0:1], v[68:69]
	;; [unrolled: 1-line block ×3, first 2 shown]
	s_waitcnt vmcnt(0)
	v_mul_f64 v[64:65], v[28:29], v[80:81]
	v_fmac_f64_e32 v[88:89], v[6:7], v[54:55]
	v_fma_f64 v[48:49], v[4:5], v[54:55], -v[48:49]
	v_fma_f64 v[24:25], v[24:25], v[62:63], -v[50:51]
	v_fma_f64 v[50:51], v[0:1], v[66:67], -v[52:53]
	v_fma_f64 v[52:53], v[8:9], v[70:71], -v[18:19]
	v_fma_f64 v[54:55], v[12:13], v[74:75], -v[56:57]
	v_fmac_f64_e32 v[60:61], v[26:27], v[62:63]
	v_fmac_f64_e32 v[34:35], v[10:11], v[70:71]
	;; [unrolled: 1-line block ×4, first 2 shown]
	v_mul_f64 v[58:59], v[30:31], v[80:81]
	v_fmac_f64_e32 v[64:65], v[30:31], v[78:79]
	v_add_f64 v[8:9], v[84:85], v[90:91]
	v_add_f64 v[10:11], v[24:25], -v[50:51]
	v_add_f64 v[12:13], v[52:53], -v[54:55]
	;; [unrolled: 1-line block ×4, first 2 shown]
	v_add_f64 v[62:63], v[38:39], v[46:47]
	v_fma_f64 v[28:29], v[28:29], v[78:79], -v[58:59]
	v_add_f64 v[14:15], v[50:51], v[54:55]
	v_add_f64 v[66:67], v[24:25], -v[52:53]
	v_fma_f64 v[68:69], -0.5, v[8:9], v[22:23]
	v_add_f64 v[8:9], v[10:11], v[12:13]
	v_add_f64 v[10:11], v[30:31], v[56:57]
	v_fma_f64 v[30:31], -0.5, v[62:63], v[64:65]
	v_add_f64 v[18:19], v[60:61], -v[34:35]
	v_add_f64 v[58:59], v[50:51], -v[54:55]
	v_fma_f64 v[12:13], -0.5, v[14:15], v[28:29]
	v_fma_f64 v[70:71], s[10:11], v[66:67], v[30:31]
	v_add_f64 v[26:27], v[38:39], -v[46:47]
	v_fma_f64 v[62:63], s[16:17], v[18:19], v[12:13]
	v_fmac_f64_e32 v[70:71], s[12:13], v[58:59]
	v_add_f64 v[0:1], v[82:83], -v[84:85]
	v_add_f64 v[2:3], v[88:89], -v[90:91]
	v_fmac_f64_e32 v[62:63], s[18:19], v[26:27]
	v_fmac_f64_e32 v[70:71], s[14:15], v[10:11]
	v_add_f64 v[0:1], v[0:1], v[2:3]
	v_fmac_f64_e32 v[62:63], s[14:15], v[8:9]
	v_mul_f64 v[2:3], v[70:71], s[20:21]
	v_add_f64 v[6:7], v[32:33], -v[48:49]
	v_fma_f64 v[72:73], v[62:63], s[18:19], -v[2:3]
	v_add_f64 v[2:3], v[84:85], -v[82:83]
	v_add_f64 v[14:15], v[90:91], -v[88:89]
	v_add_f64 v[4:5], v[36:37], -v[16:17]
	v_fma_f64 v[56:57], s[10:11], v[6:7], v[68:69]
	v_add_f64 v[2:3], v[2:3], v[14:15]
	v_add_f64 v[14:15], v[82:83], v[88:89]
	v_fmac_f64_e32 v[68:69], s[16:17], v[6:7]
	v_fmac_f64_e32 v[56:57], s[12:13], v[4:5]
	v_fma_f64 v[74:75], -0.5, v[14:15], v[22:23]
	v_fmac_f64_e32 v[68:69], s[18:19], v[4:5]
	v_fmac_f64_e32 v[56:57], s[14:15], v[0:1]
	v_fma_f64 v[76:77], s[16:17], v[4:5], v[74:75]
	v_fmac_f64_e32 v[74:75], s[10:11], v[4:5]
	v_fmac_f64_e32 v[68:69], s[14:15], v[0:1]
	v_add_f64 v[0:1], v[64:65], v[60:61]
	v_add_f64 v[4:5], v[22:23], v[82:83]
	;; [unrolled: 1-line block ×4, first 2 shown]
	v_add_f64 v[92:93], v[38:39], -v[60:61]
	v_add_f64 v[94:95], v[46:47], -v[34:35]
	v_add_f64 v[4:5], v[4:5], v[90:91]
	v_add_f64 v[0:1], v[0:1], v[46:47]
	;; [unrolled: 1-line block ×6, first 2 shown]
	v_add_f64 v[0:1], v[32:33], -v[36:37]
	v_add_f64 v[4:5], v[48:49], -v[16:17]
	v_add_f64 v[22:23], v[0:1], v[4:5]
	v_add_f64 v[0:1], v[36:37], v[16:17]
	v_fma_f64 v[46:47], -0.5, v[0:1], v[20:21]
	v_mul_f64 v[0:1], v[62:63], s[20:21]
	v_fma_f64 v[62:63], v[70:71], s[12:13], -v[0:1]
	v_add_f64 v[0:1], v[36:37], -v[32:33]
	v_add_f64 v[4:5], v[16:17], -v[48:49]
	;; [unrolled: 1-line block ×4, first 2 shown]
	v_add_f64 v[0:1], v[0:1], v[4:5]
	v_add_f64 v[4:5], v[32:33], v[48:49]
	;; [unrolled: 1-line block ×4, first 2 shown]
	v_fma_f64 v[94:95], -0.5, v[94:95], v[64:65]
	v_fma_f64 v[64:65], -0.5, v[4:5], v[20:21]
	v_add_f64 v[20:21], v[20:21], v[32:33]
	v_fma_f64 v[78:79], -0.5, v[78:79], v[28:29]
	v_fma_f64 v[96:97], s[16:17], v[58:59], v[94:95]
	v_add_f64 v[20:21], v[20:21], v[36:37]
	v_fma_f64 v[80:81], s[10:11], v[26:27], v[78:79]
	v_fmac_f64_e32 v[96:97], s[12:13], v[66:67]
	v_fmac_f64_e32 v[94:95], s[10:11], v[58:59]
	v_add_f64 v[16:17], v[20:21], v[16:17]
	v_fmac_f64_e32 v[80:81], s[18:19], v[18:19]
	v_fmac_f64_e32 v[96:97], s[14:15], v[92:93]
	;; [unrolled: 1-line block ×6, first 2 shown]
	v_add_f64 v[36:37], v[16:17], v[48:49]
	v_add_f64 v[16:17], v[28:29], v[24:25]
	v_fmac_f64_e32 v[76:77], s[12:13], v[6:7]
	v_fmac_f64_e32 v[80:81], s[14:15], v[14:15]
	;; [unrolled: 1-line block ×5, first 2 shown]
	v_mul_f64 v[6:7], v[96:97], s[14:15]
	v_fmac_f64_e32 v[30:31], s[18:19], v[58:59]
	v_fmac_f64_e32 v[12:13], s[12:13], v[26:27]
	v_add_f64 v[26:27], v[82:83], -v[88:89]
	v_add_f64 v[34:35], v[84:85], -v[90:91]
	v_add_f64 v[16:17], v[16:17], v[50:51]
	v_fmac_f64_e32 v[78:79], s[14:15], v[14:15]
	v_fma_f64 v[92:93], v[80:81], s[16:17], -v[6:7]
	v_fmac_f64_e32 v[30:31], s[14:15], v[10:11]
	v_fmac_f64_e32 v[12:13], s[14:15], v[8:9]
	v_mul_f64 v[4:5], v[80:81], s[14:15]
	v_fma_f64 v[80:81], s[10:11], v[34:35], v[64:65]
	v_fmac_f64_e32 v[64:65], s[16:17], v[34:35]
	v_fma_f64 v[82:83], s[16:17], v[26:27], v[46:47]
	v_mul_f64 v[84:85], v[94:95], s[10:11]
	v_fmac_f64_e32 v[46:47], s[10:11], v[26:27]
	v_add_f64 v[16:17], v[16:17], v[54:55]
	v_mul_f64 v[66:67], v[78:79], s[16:17]
	v_mul_f64 v[58:59], v[12:13], s[18:19]
	v_fmac_f64_e32 v[80:81], s[18:19], v[26:27]
	v_fmac_f64_e32 v[64:65], s[12:13], v[26:27]
	;; [unrolled: 1-line block ×5, first 2 shown]
	v_mul_f64 v[78:79], v[30:31], s[12:13]
	v_add_f64 v[48:49], v[16:17], v[52:53]
	v_fmac_f64_e32 v[76:77], s[14:15], v[2:3]
	v_fmac_f64_e32 v[74:75], s[14:15], v[2:3]
	;; [unrolled: 1-line block ×4, first 2 shown]
	v_add_f64 v[18:19], v[60:61], -v[38:39]
	v_fma_f64 v[70:71], v[96:97], s[10:11], -v[4:5]
	v_fmac_f64_e32 v[80:81], s[14:15], v[0:1]
	v_fmac_f64_e32 v[64:65], s[14:15], v[0:1]
	;; [unrolled: 1-line block ×5, first 2 shown]
	v_add_f64 v[16:17], v[36:37], -v[48:49]
	v_add_f64 v[38:39], v[60:61], v[38:39]
	v_add_f64 v[36:37], v[36:37], v[48:49]
	v_add_f64 v[2:3], v[56:57], -v[72:73]
	v_add_f64 v[6:7], v[76:77], -v[92:93]
	;; [unrolled: 1-line block ×8, first 2 shown]
	v_add_f64 v[22:23], v[56:57], v[72:73]
	v_add_f64 v[26:27], v[76:77], v[92:93]
	;; [unrolled: 1-line block ×8, first 2 shown]
	ds_write_b128 v86, v[36:39]
	ds_write_b128 v86, v[32:35] offset:1280
	ds_write_b128 v86, v[28:31] offset:2560
	;; [unrolled: 1-line block ×9, first 2 shown]
.LBB0_19:
	s_or_b64 exec, exec, s[2:3]
	s_waitcnt lgkmcnt(0)
	s_barrier
	ds_read_b128 v[4:7], v86
	s_add_u32 s8, s8, 0x3100
	v_lshlrev_b32_e32 v0, 4, v44
	s_addc_u32 s9, s9, 0
	v_sub_u32_e32 v12, 0, v0
	v_cmp_ne_u32_e64 s[2:3], 0, v44
                                        ; implicit-def: $vgpr2_vgpr3
                                        ; implicit-def: $vgpr8_vgpr9
                                        ; implicit-def: $vgpr10_vgpr11
	s_and_saveexec_b64 s[10:11], s[2:3]
	s_xor_b64 s[2:3], exec, s[10:11]
	s_cbranch_execz .LBB0_21
; %bb.20:
	v_mov_b32_e32 v45, 0
	v_lshl_add_u64 v[0:1], v[44:45], 4, s[8:9]
	global_load_dwordx4 v[0:3], v[0:1], off
	ds_read_b128 v[8:11], v12 offset:12800
	s_waitcnt lgkmcnt(0)
	v_add_f64 v[14:15], v[4:5], v[8:9]
	v_add_f64 v[4:5], v[4:5], -v[8:9]
	v_add_f64 v[16:17], v[6:7], v[10:11]
	v_add_f64 v[6:7], v[6:7], -v[10:11]
	v_mul_f64 v[4:5], v[4:5], 0.5
	v_mul_f64 v[10:11], v[16:17], 0.5
	;; [unrolled: 1-line block ×3, first 2 shown]
	s_waitcnt vmcnt(0)
	v_mul_f64 v[16:17], v[4:5], v[2:3]
	v_fma_f64 v[8:9], v[10:11], v[2:3], v[6:7]
	v_fma_f64 v[2:3], v[10:11], v[2:3], -v[6:7]
	v_fma_f64 v[6:7], 0.5, v[14:15], v[16:17]
	v_fma_f64 v[14:15], v[14:15], 0.5, -v[16:17]
	v_fmac_f64_e32 v[6:7], v[10:11], v[0:1]
	v_fma_f64 v[8:9], -v[0:1], v[4:5], v[8:9]
	v_fma_f64 v[2:3], -v[0:1], v[4:5], v[2:3]
	;; [unrolled: 1-line block ×3, first 2 shown]
	ds_write_b64 v86, v[6:7]
	v_mov_b64_e32 v[10:11], v[44:45]
                                        ; implicit-def: $vgpr4_vgpr5
.LBB0_21:
	s_andn2_saveexec_b64 s[2:3], s[2:3]
	s_cbranch_execz .LBB0_23
; %bb.22:
	v_mov_b32_e32 v13, 0
	ds_read_b64 v[2:3], v13 offset:6408
	s_waitcnt lgkmcnt(1)
	v_add_f64 v[8:9], v[4:5], v[6:7]
	ds_write_b64 v86, v[8:9]
	v_mov_b64_e32 v[8:9], 0
	v_add_f64 v[0:1], v[4:5], -v[6:7]
	s_waitcnt lgkmcnt(1)
	v_xor_b32_e32 v3, 0x80000000, v3
	v_mov_b64_e32 v[10:11], 0
	ds_write_b64 v13, v[2:3] offset:6408
	v_mov_b64_e32 v[2:3], v[8:9]
.LBB0_23:
	s_or_b64 exec, exec, s[2:3]
	s_waitcnt lgkmcnt(0)
	v_lshl_add_u64 v[4:5], v[10:11], 4, s[8:9]
	global_load_dwordx4 v[14:17], v[4:5], off offset:2560
	ds_write_b64 v86, v[8:9] offset:8
	ds_write_b128 v12, v[0:3] offset:12800
	ds_read_b128 v[0:3], v86 offset:2560
	ds_read_b128 v[6:9], v12 offset:10240
	s_waitcnt lgkmcnt(0)
	v_add_f64 v[10:11], v[0:1], v[6:7]
	v_add_f64 v[0:1], v[0:1], -v[6:7]
	v_add_f64 v[18:19], v[2:3], v[8:9]
	v_add_f64 v[2:3], v[2:3], -v[8:9]
	v_mul_f64 v[8:9], v[0:1], 0.5
	v_mul_f64 v[6:7], v[18:19], 0.5
	;; [unrolled: 1-line block ×3, first 2 shown]
	s_waitcnt vmcnt(0)
	v_mul_f64 v[18:19], v[8:9], v[16:17]
	v_fma_f64 v[2:3], v[6:7], v[16:17], v[0:1]
	v_fma_f64 v[16:17], v[6:7], v[16:17], -v[0:1]
	v_fma_f64 v[0:1], 0.5, v[10:11], v[18:19]
	v_fma_f64 v[2:3], -v[14:15], v[8:9], v[2:3]
	v_fma_f64 v[10:11], v[10:11], 0.5, -v[18:19]
	v_fmac_f64_e32 v[0:1], v[6:7], v[14:15]
	v_fma_f64 v[8:9], -v[14:15], v[8:9], v[16:17]
	v_fma_f64 v[6:7], -v[6:7], v[14:15], v[10:11]
	ds_write_b128 v86, v[0:3] offset:2560
	ds_write_b128 v12, v[6:9] offset:10240
	s_and_saveexec_b64 s[2:3], vcc
	s_cbranch_execz .LBB0_25
; %bb.24:
	s_movk_i32 s8, 0x1000
	v_add_co_u32_e32 v0, vcc, s8, v4
	s_nop 1
	v_addc_co_u32_e32 v1, vcc, 0, v5, vcc
	global_load_dwordx4 v[0:3], v[0:1], off offset:1024
	ds_read_b128 v[4:7], v86 offset:5120
	ds_read_b128 v[8:11], v12 offset:7680
	s_waitcnt lgkmcnt(0)
	v_add_f64 v[14:15], v[4:5], v[8:9]
	v_add_f64 v[4:5], v[4:5], -v[8:9]
	v_add_f64 v[16:17], v[6:7], v[10:11]
	v_add_f64 v[6:7], v[6:7], -v[10:11]
	v_mul_f64 v[8:9], v[4:5], 0.5
	v_mul_f64 v[10:11], v[16:17], 0.5
	v_mul_f64 v[4:5], v[6:7], 0.5
	s_waitcnt vmcnt(0)
	v_mul_f64 v[6:7], v[8:9], v[2:3]
	v_fma_f64 v[16:17], v[10:11], v[2:3], v[4:5]
	v_fma_f64 v[18:19], v[10:11], v[2:3], -v[4:5]
	v_fma_f64 v[2:3], 0.5, v[14:15], v[6:7]
	v_fma_f64 v[4:5], -v[0:1], v[8:9], v[16:17]
	v_fma_f64 v[6:7], v[14:15], 0.5, -v[6:7]
	v_fmac_f64_e32 v[2:3], v[10:11], v[0:1]
	v_fma_f64 v[8:9], -v[0:1], v[8:9], v[18:19]
	v_fma_f64 v[6:7], -v[10:11], v[0:1], v[6:7]
	ds_write_b128 v86, v[2:5] offset:5120
	ds_write_b128 v12, v[6:9] offset:7680
.LBB0_25:
	s_or_b64 exec, exec, s[2:3]
	s_waitcnt lgkmcnt(0)
	s_barrier
	s_and_saveexec_b64 s[2:3], s[0:1]
	s_cbranch_execz .LBB0_28
; %bb.26:
	v_mul_lo_u32 v2, s5, v42
	v_mul_lo_u32 v3, s4, v43
	v_mad_u64_u32 v[0:1], s[0:1], s4, v42, 0
	v_lshl_add_u32 v12, v44, 4, 0
	v_add3_u32 v1, v1, v3, v2
	ds_read_b128 v[2:5], v12
	ds_read_b128 v[6:9], v12 offset:2560
	v_lshl_add_u64 v[0:1], v[0:1], 4, s[6:7]
	v_mov_b32_e32 v45, 0
	v_lshl_add_u64 v[0:1], v[40:41], 4, v[0:1]
	v_lshl_add_u64 v[10:11], v[44:45], 4, v[0:1]
	s_waitcnt lgkmcnt(1)
	global_store_dwordx4 v[10:11], v[2:5], off
	s_movk_i32 s0, 0x9f
	v_cmp_eq_u32_e32 vcc, s0, v44
	v_add_u32_e32 v2, 0xa0, v44
	v_mov_b32_e32 v3, v45
	v_lshl_add_u64 v[2:3], v[2:3], 4, v[0:1]
	s_waitcnt lgkmcnt(0)
	global_store_dwordx4 v[2:3], v[6:9], off
	ds_read_b128 v[2:5], v12 offset:5120
	s_nop 0
	v_add_u32_e32 v6, 0x140, v44
	v_mov_b32_e32 v7, v45
	v_lshl_add_u64 v[10:11], v[6:7], 4, v[0:1]
	ds_read_b128 v[6:9], v12 offset:7680
	s_waitcnt lgkmcnt(1)
	global_store_dwordx4 v[10:11], v[2:5], off
	s_nop 1
	v_add_u32_e32 v2, 0x1e0, v44
	v_mov_b32_e32 v3, v45
	v_lshl_add_u64 v[10:11], v[2:3], 4, v[0:1]
	ds_read_b128 v[2:5], v12 offset:10240
	s_waitcnt lgkmcnt(1)
	global_store_dwordx4 v[10:11], v[6:9], off
	s_nop 1
	v_add_u32_e32 v6, 0x280, v44
	v_mov_b32_e32 v7, v45
	v_lshl_add_u64 v[6:7], v[6:7], 4, v[0:1]
	s_waitcnt lgkmcnt(0)
	global_store_dwordx4 v[6:7], v[2:5], off
	s_and_b64 exec, exec, vcc
	s_cbranch_execz .LBB0_28
; %bb.27:
	ds_read_b128 v[2:5], v45 offset:12800
	v_add_co_u32_e32 v0, vcc, 0x3000, v0
	s_nop 1
	v_addc_co_u32_e32 v1, vcc, 0, v1, vcc
	s_waitcnt lgkmcnt(0)
	global_store_dwordx4 v[0:1], v[2:5], off offset:512
.LBB0_28:
	s_endpgm
	.section	.rodata,"a",@progbits
	.p2align	6, 0x0
	.amdhsa_kernel fft_rtc_fwd_len800_factors_16_5_10_wgs_160_tpt_160_halfLds_dp_op_CI_CI_unitstride_sbrr_R2C_dirReg
		.amdhsa_group_segment_fixed_size 0
		.amdhsa_private_segment_fixed_size 0
		.amdhsa_kernarg_size 104
		.amdhsa_user_sgpr_count 2
		.amdhsa_user_sgpr_dispatch_ptr 0
		.amdhsa_user_sgpr_queue_ptr 0
		.amdhsa_user_sgpr_kernarg_segment_ptr 1
		.amdhsa_user_sgpr_dispatch_id 0
		.amdhsa_user_sgpr_kernarg_preload_length 0
		.amdhsa_user_sgpr_kernarg_preload_offset 0
		.amdhsa_user_sgpr_private_segment_size 0
		.amdhsa_uses_dynamic_stack 0
		.amdhsa_enable_private_segment 0
		.amdhsa_system_sgpr_workgroup_id_x 1
		.amdhsa_system_sgpr_workgroup_id_y 0
		.amdhsa_system_sgpr_workgroup_id_z 0
		.amdhsa_system_sgpr_workgroup_info 0
		.amdhsa_system_vgpr_workitem_id 0
		.amdhsa_next_free_vgpr 98
		.amdhsa_next_free_sgpr 28
		.amdhsa_accum_offset 100
		.amdhsa_reserve_vcc 1
		.amdhsa_float_round_mode_32 0
		.amdhsa_float_round_mode_16_64 0
		.amdhsa_float_denorm_mode_32 3
		.amdhsa_float_denorm_mode_16_64 3
		.amdhsa_dx10_clamp 1
		.amdhsa_ieee_mode 1
		.amdhsa_fp16_overflow 0
		.amdhsa_tg_split 0
		.amdhsa_exception_fp_ieee_invalid_op 0
		.amdhsa_exception_fp_denorm_src 0
		.amdhsa_exception_fp_ieee_div_zero 0
		.amdhsa_exception_fp_ieee_overflow 0
		.amdhsa_exception_fp_ieee_underflow 0
		.amdhsa_exception_fp_ieee_inexact 0
		.amdhsa_exception_int_div_zero 0
	.end_amdhsa_kernel
	.text
.Lfunc_end0:
	.size	fft_rtc_fwd_len800_factors_16_5_10_wgs_160_tpt_160_halfLds_dp_op_CI_CI_unitstride_sbrr_R2C_dirReg, .Lfunc_end0-fft_rtc_fwd_len800_factors_16_5_10_wgs_160_tpt_160_halfLds_dp_op_CI_CI_unitstride_sbrr_R2C_dirReg
                                        ; -- End function
	.section	.AMDGPU.csdata,"",@progbits
; Kernel info:
; codeLenInByte = 6448
; NumSgprs: 34
; NumVgprs: 98
; NumAgprs: 0
; TotalNumVgprs: 98
; ScratchSize: 0
; MemoryBound: 0
; FloatMode: 240
; IeeeMode: 1
; LDSByteSize: 0 bytes/workgroup (compile time only)
; SGPRBlocks: 4
; VGPRBlocks: 12
; NumSGPRsForWavesPerEU: 34
; NumVGPRsForWavesPerEU: 98
; AccumOffset: 100
; Occupancy: 4
; WaveLimiterHint : 1
; COMPUTE_PGM_RSRC2:SCRATCH_EN: 0
; COMPUTE_PGM_RSRC2:USER_SGPR: 2
; COMPUTE_PGM_RSRC2:TRAP_HANDLER: 0
; COMPUTE_PGM_RSRC2:TGID_X_EN: 1
; COMPUTE_PGM_RSRC2:TGID_Y_EN: 0
; COMPUTE_PGM_RSRC2:TGID_Z_EN: 0
; COMPUTE_PGM_RSRC2:TIDIG_COMP_CNT: 0
; COMPUTE_PGM_RSRC3_GFX90A:ACCUM_OFFSET: 24
; COMPUTE_PGM_RSRC3_GFX90A:TG_SPLIT: 0
	.text
	.p2alignl 6, 3212836864
	.fill 256, 4, 3212836864
	.type	__hip_cuid_6dbd22711a725c16,@object ; @__hip_cuid_6dbd22711a725c16
	.section	.bss,"aw",@nobits
	.globl	__hip_cuid_6dbd22711a725c16
__hip_cuid_6dbd22711a725c16:
	.byte	0                               ; 0x0
	.size	__hip_cuid_6dbd22711a725c16, 1

	.ident	"AMD clang version 19.0.0git (https://github.com/RadeonOpenCompute/llvm-project roc-6.4.0 25133 c7fe45cf4b819c5991fe208aaa96edf142730f1d)"
	.section	".note.GNU-stack","",@progbits
	.addrsig
	.addrsig_sym __hip_cuid_6dbd22711a725c16
	.amdgpu_metadata
---
amdhsa.kernels:
  - .agpr_count:     0
    .args:
      - .actual_access:  read_only
        .address_space:  global
        .offset:         0
        .size:           8
        .value_kind:     global_buffer
      - .offset:         8
        .size:           8
        .value_kind:     by_value
      - .actual_access:  read_only
        .address_space:  global
        .offset:         16
        .size:           8
        .value_kind:     global_buffer
      - .actual_access:  read_only
        .address_space:  global
        .offset:         24
        .size:           8
        .value_kind:     global_buffer
      - .actual_access:  read_only
        .address_space:  global
        .offset:         32
        .size:           8
        .value_kind:     global_buffer
      - .offset:         40
        .size:           8
        .value_kind:     by_value
      - .actual_access:  read_only
        .address_space:  global
        .offset:         48
        .size:           8
        .value_kind:     global_buffer
      - .actual_access:  read_only
        .address_space:  global
        .offset:         56
        .size:           8
        .value_kind:     global_buffer
      - .offset:         64
        .size:           4
        .value_kind:     by_value
      - .actual_access:  read_only
        .address_space:  global
        .offset:         72
        .size:           8
        .value_kind:     global_buffer
      - .actual_access:  read_only
        .address_space:  global
        .offset:         80
        .size:           8
        .value_kind:     global_buffer
      - .actual_access:  read_only
        .address_space:  global
        .offset:         88
        .size:           8
        .value_kind:     global_buffer
      - .actual_access:  write_only
        .address_space:  global
        .offset:         96
        .size:           8
        .value_kind:     global_buffer
    .group_segment_fixed_size: 0
    .kernarg_segment_align: 8
    .kernarg_segment_size: 104
    .language:       OpenCL C
    .language_version:
      - 2
      - 0
    .max_flat_workgroup_size: 160
    .name:           fft_rtc_fwd_len800_factors_16_5_10_wgs_160_tpt_160_halfLds_dp_op_CI_CI_unitstride_sbrr_R2C_dirReg
    .private_segment_fixed_size: 0
    .sgpr_count:     34
    .sgpr_spill_count: 0
    .symbol:         fft_rtc_fwd_len800_factors_16_5_10_wgs_160_tpt_160_halfLds_dp_op_CI_CI_unitstride_sbrr_R2C_dirReg.kd
    .uniform_work_group_size: 1
    .uses_dynamic_stack: false
    .vgpr_count:     98
    .vgpr_spill_count: 0
    .wavefront_size: 64
amdhsa.target:   amdgcn-amd-amdhsa--gfx950
amdhsa.version:
  - 1
  - 2
...

	.end_amdgpu_metadata
